;; amdgpu-corpus repo=ROCm/rocFFT kind=compiled arch=gfx906 opt=O3
	.text
	.amdgcn_target "amdgcn-amd-amdhsa--gfx906"
	.amdhsa_code_object_version 6
	.protected	fft_rtc_fwd_len343_factors_7_7_7_wgs_245_tpt_49_halfLds_dp_op_CI_CI_unitstride_sbrr_dirReg ; -- Begin function fft_rtc_fwd_len343_factors_7_7_7_wgs_245_tpt_49_halfLds_dp_op_CI_CI_unitstride_sbrr_dirReg
	.globl	fft_rtc_fwd_len343_factors_7_7_7_wgs_245_tpt_49_halfLds_dp_op_CI_CI_unitstride_sbrr_dirReg
	.p2align	8
	.type	fft_rtc_fwd_len343_factors_7_7_7_wgs_245_tpt_49_halfLds_dp_op_CI_CI_unitstride_sbrr_dirReg,@function
fft_rtc_fwd_len343_factors_7_7_7_wgs_245_tpt_49_halfLds_dp_op_CI_CI_unitstride_sbrr_dirReg: ; @fft_rtc_fwd_len343_factors_7_7_7_wgs_245_tpt_49_halfLds_dp_op_CI_CI_unitstride_sbrr_dirReg
; %bb.0:
	v_mul_u32_u24_e32 v1, 0x53a, v0
	s_load_dwordx4 s[8:11], s[4:5], 0x58
	s_load_dwordx4 s[12:15], s[4:5], 0x0
	;; [unrolled: 1-line block ×3, first 2 shown]
	v_lshrrev_b32_e32 v1, 16, v1
	v_mad_u64_u32 v[36:37], s[0:1], s6, 5, v[1:2]
	v_mov_b32_e32 v4, 0
	v_mov_b32_e32 v1, 0
	s_waitcnt lgkmcnt(0)
	v_cmp_lt_u64_e64 s[0:1], s[14:15], 2
	v_mov_b32_e32 v5, 0
	v_mov_b32_e32 v37, v1
	;; [unrolled: 1-line block ×4, first 2 shown]
	s_and_b64 vcc, exec, s[0:1]
	v_mov_b32_e32 v28, v4
	v_mov_b32_e32 v31, v37
	s_cbranch_vccnz .LBB0_8
; %bb.1:
	s_load_dwordx2 s[0:1], s[4:5], 0x10
	s_add_u32 s2, s18, 8
	s_addc_u32 s3, s19, 0
	s_add_u32 s6, s16, 8
	v_mov_b32_e32 v4, 0
	s_addc_u32 s7, s17, 0
	v_mov_b32_e32 v5, 0
	s_waitcnt lgkmcnt(0)
	s_add_u32 s20, s0, 8
	v_mov_b32_e32 v29, v5
	v_mov_b32_e32 v6, v36
	s_addc_u32 s21, s1, 0
	s_mov_b64 s[22:23], 1
	v_mov_b32_e32 v28, v4
	v_mov_b32_e32 v7, v37
.LBB0_2:                                ; =>This Inner Loop Header: Depth=1
	s_load_dwordx2 s[24:25], s[20:21], 0x0
                                        ; implicit-def: $vgpr30_vgpr31
	s_waitcnt lgkmcnt(0)
	v_or_b32_e32 v2, s25, v7
	v_cmp_ne_u64_e32 vcc, 0, v[1:2]
	s_and_saveexec_b64 s[0:1], vcc
	s_xor_b64 s[26:27], exec, s[0:1]
	s_cbranch_execz .LBB0_4
; %bb.3:                                ;   in Loop: Header=BB0_2 Depth=1
	v_cvt_f32_u32_e32 v2, s24
	v_cvt_f32_u32_e32 v3, s25
	s_sub_u32 s0, 0, s24
	s_subb_u32 s1, 0, s25
	v_mac_f32_e32 v2, 0x4f800000, v3
	v_rcp_f32_e32 v2, v2
	v_mul_f32_e32 v2, 0x5f7ffffc, v2
	v_mul_f32_e32 v3, 0x2f800000, v2
	v_trunc_f32_e32 v3, v3
	v_mac_f32_e32 v2, 0xcf800000, v3
	v_cvt_u32_f32_e32 v3, v3
	v_cvt_u32_f32_e32 v2, v2
	v_mul_lo_u32 v8, s0, v3
	v_mul_hi_u32 v9, s0, v2
	v_mul_lo_u32 v11, s1, v2
	v_mul_lo_u32 v10, s0, v2
	v_add_u32_e32 v8, v9, v8
	v_add_u32_e32 v8, v8, v11
	v_mul_hi_u32 v9, v2, v10
	v_mul_lo_u32 v11, v2, v8
	v_mul_hi_u32 v13, v2, v8
	v_mul_hi_u32 v12, v3, v10
	v_mul_lo_u32 v10, v3, v10
	v_mul_hi_u32 v14, v3, v8
	v_add_co_u32_e32 v9, vcc, v9, v11
	v_addc_co_u32_e32 v11, vcc, 0, v13, vcc
	v_mul_lo_u32 v8, v3, v8
	v_add_co_u32_e32 v9, vcc, v9, v10
	v_addc_co_u32_e32 v9, vcc, v11, v12, vcc
	v_addc_co_u32_e32 v10, vcc, 0, v14, vcc
	v_add_co_u32_e32 v8, vcc, v9, v8
	v_addc_co_u32_e32 v9, vcc, 0, v10, vcc
	v_add_co_u32_e32 v2, vcc, v2, v8
	v_addc_co_u32_e32 v3, vcc, v3, v9, vcc
	v_mul_lo_u32 v8, s0, v3
	v_mul_hi_u32 v9, s0, v2
	v_mul_lo_u32 v10, s1, v2
	v_mul_lo_u32 v11, s0, v2
	v_add_u32_e32 v8, v9, v8
	v_add_u32_e32 v8, v8, v10
	v_mul_lo_u32 v12, v2, v8
	v_mul_hi_u32 v13, v2, v11
	v_mul_hi_u32 v14, v2, v8
	;; [unrolled: 1-line block ×3, first 2 shown]
	v_mul_lo_u32 v11, v3, v11
	v_mul_hi_u32 v9, v3, v8
	v_add_co_u32_e32 v12, vcc, v13, v12
	v_addc_co_u32_e32 v13, vcc, 0, v14, vcc
	v_mul_lo_u32 v8, v3, v8
	v_add_co_u32_e32 v11, vcc, v12, v11
	v_addc_co_u32_e32 v10, vcc, v13, v10, vcc
	v_addc_co_u32_e32 v9, vcc, 0, v9, vcc
	v_add_co_u32_e32 v8, vcc, v10, v8
	v_addc_co_u32_e32 v9, vcc, 0, v9, vcc
	v_add_co_u32_e32 v8, vcc, v2, v8
	v_addc_co_u32_e32 v9, vcc, v3, v9, vcc
	v_mad_u64_u32 v[2:3], s[0:1], v6, v9, 0
	v_mul_hi_u32 v10, v6, v8
	v_add_co_u32_e32 v10, vcc, v10, v2
	v_addc_co_u32_e32 v11, vcc, 0, v3, vcc
	v_mad_u64_u32 v[2:3], s[0:1], v7, v8, 0
	v_mad_u64_u32 v[8:9], s[0:1], v7, v9, 0
	v_add_co_u32_e32 v2, vcc, v10, v2
	v_addc_co_u32_e32 v2, vcc, v11, v3, vcc
	v_addc_co_u32_e32 v3, vcc, 0, v9, vcc
	v_add_co_u32_e32 v8, vcc, v2, v8
	v_addc_co_u32_e32 v9, vcc, 0, v3, vcc
	v_mul_lo_u32 v10, s25, v8
	v_mul_lo_u32 v11, s24, v9
	v_mad_u64_u32 v[2:3], s[0:1], s24, v8, 0
	v_add3_u32 v3, v3, v11, v10
	v_sub_u32_e32 v10, v7, v3
	v_mov_b32_e32 v11, s25
	v_sub_co_u32_e32 v2, vcc, v6, v2
	v_subb_co_u32_e64 v10, s[0:1], v10, v11, vcc
	v_subrev_co_u32_e64 v11, s[0:1], s24, v2
	v_subbrev_co_u32_e64 v10, s[0:1], 0, v10, s[0:1]
	v_cmp_le_u32_e64 s[0:1], s25, v10
	v_cndmask_b32_e64 v12, 0, -1, s[0:1]
	v_cmp_le_u32_e64 s[0:1], s24, v11
	v_cndmask_b32_e64 v11, 0, -1, s[0:1]
	v_cmp_eq_u32_e64 s[0:1], s25, v10
	v_cndmask_b32_e64 v10, v12, v11, s[0:1]
	v_add_co_u32_e64 v11, s[0:1], 2, v8
	v_addc_co_u32_e64 v12, s[0:1], 0, v9, s[0:1]
	v_add_co_u32_e64 v13, s[0:1], 1, v8
	v_addc_co_u32_e64 v14, s[0:1], 0, v9, s[0:1]
	v_subb_co_u32_e32 v3, vcc, v7, v3, vcc
	v_cmp_ne_u32_e64 s[0:1], 0, v10
	v_cmp_le_u32_e32 vcc, s25, v3
	v_cndmask_b32_e64 v10, v14, v12, s[0:1]
	v_cndmask_b32_e64 v12, 0, -1, vcc
	v_cmp_le_u32_e32 vcc, s24, v2
	v_cndmask_b32_e64 v2, 0, -1, vcc
	v_cmp_eq_u32_e32 vcc, s25, v3
	v_cndmask_b32_e32 v2, v12, v2, vcc
	v_cmp_ne_u32_e32 vcc, 0, v2
	v_cndmask_b32_e64 v2, v13, v11, s[0:1]
	v_cndmask_b32_e32 v31, v9, v10, vcc
	v_cndmask_b32_e32 v30, v8, v2, vcc
.LBB0_4:                                ;   in Loop: Header=BB0_2 Depth=1
	s_andn2_saveexec_b64 s[0:1], s[26:27]
	s_cbranch_execz .LBB0_6
; %bb.5:                                ;   in Loop: Header=BB0_2 Depth=1
	v_cvt_f32_u32_e32 v2, s24
	s_sub_i32 s26, 0, s24
	v_mov_b32_e32 v31, v1
	v_rcp_iflag_f32_e32 v2, v2
	v_mul_f32_e32 v2, 0x4f7ffffe, v2
	v_cvt_u32_f32_e32 v2, v2
	v_mul_lo_u32 v3, s26, v2
	v_mul_hi_u32 v3, v2, v3
	v_add_u32_e32 v2, v2, v3
	v_mul_hi_u32 v2, v6, v2
	v_mul_lo_u32 v3, v2, s24
	v_add_u32_e32 v8, 1, v2
	v_sub_u32_e32 v3, v6, v3
	v_subrev_u32_e32 v9, s24, v3
	v_cmp_le_u32_e32 vcc, s24, v3
	v_cndmask_b32_e32 v3, v3, v9, vcc
	v_cndmask_b32_e32 v2, v2, v8, vcc
	v_add_u32_e32 v8, 1, v2
	v_cmp_le_u32_e32 vcc, s24, v3
	v_cndmask_b32_e32 v30, v2, v8, vcc
.LBB0_6:                                ;   in Loop: Header=BB0_2 Depth=1
	s_or_b64 exec, exec, s[0:1]
	v_mul_lo_u32 v8, v31, s24
	v_mul_lo_u32 v9, v30, s25
	v_mad_u64_u32 v[2:3], s[0:1], v30, s24, 0
	s_load_dwordx2 s[0:1], s[6:7], 0x0
	s_load_dwordx2 s[24:25], s[2:3], 0x0
	v_add3_u32 v3, v3, v9, v8
	v_sub_co_u32_e32 v2, vcc, v6, v2
	v_subb_co_u32_e32 v3, vcc, v7, v3, vcc
	s_waitcnt lgkmcnt(0)
	v_mul_lo_u32 v6, s0, v3
	v_mul_lo_u32 v7, s1, v2
	v_mad_u64_u32 v[4:5], s[0:1], s0, v2, v[4:5]
	v_mul_lo_u32 v3, s24, v3
	v_mul_lo_u32 v8, s25, v2
	v_mad_u64_u32 v[28:29], s[0:1], s24, v2, v[28:29]
	s_add_u32 s22, s22, 1
	s_addc_u32 s23, s23, 0
	s_add_u32 s2, s2, 8
	v_add3_u32 v29, v8, v29, v3
	s_addc_u32 s3, s3, 0
	v_mov_b32_e32 v2, s14
	s_add_u32 s6, s6, 8
	v_mov_b32_e32 v3, s15
	s_addc_u32 s7, s7, 0
	v_cmp_ge_u64_e32 vcc, s[22:23], v[2:3]
	s_add_u32 s20, s20, 8
	v_add3_u32 v5, v7, v5, v6
	s_addc_u32 s21, s21, 0
	s_cbranch_vccnz .LBB0_8
; %bb.7:                                ;   in Loop: Header=BB0_2 Depth=1
	v_mov_b32_e32 v6, v30
	v_mov_b32_e32 v7, v31
	s_branch .LBB0_2
.LBB0_8:
	s_load_dwordx2 s[2:3], s[4:5], 0x28
	s_lshl_b64 s[4:5], s[14:15], 3
	s_add_u32 s26, s18, s4
	s_addc_u32 s27, s19, s5
                                        ; implicit-def: $sgpr6_sgpr7
                                        ; implicit-def: $vgpr34
	s_waitcnt lgkmcnt(0)
	v_cmp_gt_u64_e64 s[0:1], s[2:3], v[30:31]
	v_cmp_le_u64_e32 vcc, s[2:3], v[30:31]
	s_and_saveexec_b64 s[2:3], vcc
	s_xor_b64 s[2:3], exec, s[2:3]
; %bb.9:
	s_mov_b32 s6, 0x539782a
	v_mul_hi_u32 v1, v0, s6
	s_mov_b64 s[6:7], 0
                                        ; implicit-def: $vgpr4_vgpr5
	v_mul_u32_u24_e32 v1, 49, v1
	v_sub_u32_e32 v34, v0, v1
                                        ; implicit-def: $vgpr0
; %bb.10:
	s_or_saveexec_b64 s[2:3], s[2:3]
	v_mov_b32_e32 v33, s7
	v_mov_b32_e32 v32, s6
                                        ; implicit-def: $vgpr26_vgpr27
                                        ; implicit-def: $vgpr22_vgpr23
                                        ; implicit-def: $vgpr18_vgpr19
                                        ; implicit-def: $vgpr14_vgpr15
                                        ; implicit-def: $vgpr10_vgpr11
                                        ; implicit-def: $vgpr6_vgpr7
                                        ; implicit-def: $vgpr2_vgpr3
	s_xor_b64 exec, exec, s[2:3]
	s_cbranch_execz .LBB0_12
; %bb.11:
	s_add_u32 s4, s16, s4
	s_addc_u32 s5, s17, s5
	s_load_dwordx2 s[4:5], s[4:5], 0x0
	s_mov_b32 s6, 0x539782a
	v_mul_hi_u32 v3, v0, s6
	v_mov_b32_e32 v35, 0
	s_waitcnt lgkmcnt(0)
	v_mul_lo_u32 v6, s5, v30
	v_mul_lo_u32 v7, s4, v31
	v_mad_u64_u32 v[1:2], s[4:5], s4, v30, 0
	v_mul_u32_u24_e32 v3, 49, v3
	v_sub_u32_e32 v34, v0, v3
	v_add3_u32 v2, v2, v7, v6
	v_lshlrev_b64 v[0:1], 4, v[1:2]
	v_mov_b32_e32 v2, s9
	v_add_co_u32_e32 v3, vcc, s8, v0
	v_addc_co_u32_e32 v2, vcc, v2, v1, vcc
	v_lshlrev_b64 v[0:1], 4, v[4:5]
	v_add_co_u32_e32 v0, vcc, v3, v0
	v_addc_co_u32_e32 v1, vcc, v2, v1, vcc
	v_lshlrev_b32_e32 v2, 4, v34
	v_add_co_u32_e32 v32, vcc, v0, v2
	v_addc_co_u32_e32 v33, vcc, 0, v1, vcc
	global_load_dwordx4 v[0:3], v[32:33], off
	global_load_dwordx4 v[4:7], v[32:33], off offset:784
	global_load_dwordx4 v[8:11], v[32:33], off offset:1568
	;; [unrolled: 1-line block ×3, first 2 shown]
	v_add_co_u32_e32 v37, vcc, 0x1000, v32
	v_addc_co_u32_e32 v38, vcc, 0, v33, vcc
	global_load_dwordx4 v[16:19], v[32:33], off offset:3136
	global_load_dwordx4 v[20:23], v[32:33], off offset:3920
	;; [unrolled: 1-line block ×3, first 2 shown]
	v_mov_b32_e32 v32, v34
	v_mov_b32_e32 v33, v35
.LBB0_12:
	s_or_b64 exec, exec, s[2:3]
	s_waitcnt vmcnt(0)
	v_add_f64 v[37:38], v[24:25], v[4:5]
	v_add_f64 v[39:40], v[26:27], v[6:7]
	v_add_f64 v[4:5], v[4:5], -v[24:25]
	v_add_f64 v[6:7], v[6:7], -v[26:27]
	v_add_f64 v[24:25], v[20:21], v[8:9]
	v_add_f64 v[26:27], v[22:23], v[10:11]
	s_mov_b32 s2, 0xcccccccd
	v_add_f64 v[10:11], v[10:11], -v[22:23]
	v_add_f64 v[22:23], v[18:19], v[14:15]
	v_add_f64 v[14:15], v[18:19], -v[14:15]
	v_mul_hi_u32 v18, v36, s2
	v_add_f64 v[8:9], v[8:9], -v[20:21]
	v_add_f64 v[20:21], v[16:17], v[12:13]
	v_add_f64 v[12:13], v[16:17], -v[12:13]
	v_lshrrev_b32_e32 v18, 2, v18
	v_lshl_add_u32 v18, v18, 2, v18
	v_add_f64 v[16:17], v[24:25], v[37:38]
	v_sub_u32_e32 v45, v36, v18
	v_add_f64 v[18:19], v[26:27], v[39:40]
	v_add_f64 v[35:36], v[24:25], -v[37:38]
	v_add_f64 v[37:38], v[37:38], -v[20:21]
	;; [unrolled: 1-line block ×4, first 2 shown]
	s_mov_b32 s2, 0x37e14327
	v_add_f64 v[16:17], v[20:21], v[16:17]
	v_add_f64 v[20:21], v[26:27], -v[39:40]
	v_add_f64 v[39:40], v[39:40], -v[22:23]
	;; [unrolled: 1-line block ×3, first 2 shown]
	v_add_f64 v[18:19], v[22:23], v[18:19]
	v_add_f64 v[22:23], v[12:13], v[8:9]
	v_add_f64 v[12:13], v[4:5], -v[12:13]
	v_add_f64 v[8:9], v[8:9], -v[4:5]
	s_mov_b32 s4, 0x36b3c0b5
	s_mov_b32 s3, 0x3fe948f6
	;; [unrolled: 1-line block ×3, first 2 shown]
	v_add_f64 v[43:44], v[14:15], -v[10:11]
	s_mov_b32 s6, 0x5476071b
	v_add_f64 v[4:5], v[22:23], v[4:5]
	v_add_f64 v[22:23], v[14:15], v[10:11]
	v_add_f64 v[14:15], v[6:7], -v[14:15]
	v_add_f64 v[10:11], v[10:11], -v[6:7]
	s_mov_b32 s7, 0x3fe77f67
	s_mov_b32 s9, 0xbfe77f67
	;; [unrolled: 1-line block ×5, first 2 shown]
	v_add_f64 v[6:7], v[22:23], v[6:7]
	v_add_f64 v[22:23], v[2:3], v[18:19]
	v_mul_f64 v[2:3], v[37:38], s[2:3]
	v_mul_f64 v[37:38], v[24:25], s[4:5]
	s_mov_b32 s21, 0xbfe11646
	s_mov_b32 s17, 0x3febfeb5
	v_add_f64 v[0:1], v[0:1], v[16:17]
	s_mov_b32 s18, 0xb247c609
	s_mov_b32 s24, 0xaaaaaaaa
	;; [unrolled: 1-line block ×3, first 2 shown]
	v_fma_f64 v[24:25], v[24:25], s[4:5], v[2:3]
	v_fma_f64 v[37:38], v[35:36], s[6:7], -v[37:38]
	v_fma_f64 v[2:3], v[35:36], s[8:9], -v[2:3]
	v_mul_f64 v[35:36], v[39:40], s[2:3]
	v_mul_f64 v[39:40], v[26:27], s[4:5]
	s_mov_b32 s23, 0xbfd5d0dc
	s_mov_b32 s22, s18
	;; [unrolled: 1-line block ×3, first 2 shown]
	v_fma_f64 v[16:17], v[16:17], s[24:25], v[0:1]
	s_mov_b32 s14, 0x37c3f68c
	s_mov_b32 s15, 0x3fdc38aa
	v_fma_f64 v[26:27], v[26:27], s[4:5], v[35:36]
	v_fma_f64 v[39:40], v[20:21], s[6:7], -v[39:40]
	v_fma_f64 v[20:21], v[20:21], s[8:9], -v[35:36]
	v_mul_f64 v[35:36], v[41:42], s[20:21]
	v_mul_f64 v[41:42], v[8:9], s[16:17]
	v_add_f64 v[24:25], v[24:25], v[16:17]
	v_add_f64 v[37:38], v[37:38], v[16:17]
	;; [unrolled: 1-line block ×3, first 2 shown]
	v_fma_f64 v[16:17], v[18:19], s[24:25], v[22:23]
	v_mul_u32_u24_e32 v45, 0x157, v45
	v_lshlrev_b32_e32 v47, 3, v45
	v_fma_f64 v[8:9], v[8:9], s[16:17], -v[35:36]
	v_fma_f64 v[35:36], v[12:13], s[18:19], v[35:36]
	v_fma_f64 v[12:13], v[12:13], s[22:23], -v[41:42]
	v_mul_f64 v[41:42], v[43:44], s[20:21]
	v_mul_f64 v[43:44], v[10:11], s[16:17]
	v_add_f64 v[18:19], v[26:27], v[16:17]
	v_add_f64 v[26:27], v[39:40], v[16:17]
	v_add_f64 v[16:17], v[20:21], v[16:17]
	v_fma_f64 v[8:9], v[4:5], s[14:15], v[8:9]
	s_movk_i32 s28, 0xffd0
	s_load_dwordx2 s[26:27], s[26:27], 0x0
	v_fma_f64 v[10:11], v[10:11], s[16:17], -v[41:42]
	v_fma_f64 v[41:42], v[14:15], s[18:19], v[41:42]
	v_fma_f64 v[14:15], v[14:15], s[22:23], -v[43:44]
	v_fma_f64 v[10:11], v[6:7], s[14:15], v[10:11]
	v_fma_f64 v[20:21], v[6:7], s[14:15], v[41:42]
	;; [unrolled: 1-line block ×5, first 2 shown]
	v_add_f64 v[35:36], v[37:38], -v[10:11]
	v_add_f64 v[12:13], v[20:21], v[24:25]
	v_add_f64 v[10:11], v[10:11], v[37:38]
	v_add_f64 v[43:44], v[18:19], -v[14:15]
	v_add_f64 v[37:38], v[8:9], v[26:27]
	v_add_f64 v[26:27], v[26:27], -v[8:9]
	;; [unrolled: 2-line block ×3, first 2 shown]
	v_add_f64 v[2:3], v[2:3], -v[6:7]
	v_add_f64 v[41:42], v[4:5], v[16:17]
	v_add_f64 v[4:5], v[24:25], -v[20:21]
	v_add_f64 v[17:18], v[14:15], v[18:19]
	v_add_u32_e32 v6, 0, v47
	v_mad_u32_u24 v19, v34, 56, v6
	v_mad_i32_i24 v16, v34, s28, v19
	v_lshl_add_u32 v14, v34, 3, v6
	v_add_u32_e32 v15, 0x400, v16
	ds_write2_b64 v19, v[0:1], v[12:13] offset1:1
	ds_write2_b64 v19, v[8:9], v[35:36] offset0:2 offset1:3
	ds_write2_b64 v19, v[10:11], v[2:3] offset0:4 offset1:5
	ds_write_b64 v19, v[4:5] offset:48
	s_waitcnt lgkmcnt(0)
	s_barrier
	ds_read_b64 v[12:13], v14
	ds_read2_b64 v[0:3], v16 offset0:49 offset1:98
	ds_read2_b64 v[4:7], v16 offset0:147 offset1:196
	;; [unrolled: 1-line block ×3, first 2 shown]
	s_waitcnt lgkmcnt(0)
	s_barrier
	ds_write2_b64 v19, v[22:23], v[43:44] offset1:1
	ds_write2_b64 v19, v[39:40], v[37:38] offset0:2 offset1:3
	ds_write2_b64 v19, v[26:27], v[41:42] offset0:4 offset1:5
	ds_write_b64 v19, v[17:18] offset:48
	v_mov_b32_e32 v17, 37
	v_mul_lo_u16_sdwa v17, v34, v17 dst_sel:DWORD dst_unused:UNUSED_PAD src0_sel:BYTE_0 src1_sel:DWORD
	v_sub_u16_sdwa v18, v34, v17 dst_sel:DWORD dst_unused:UNUSED_PAD src0_sel:DWORD src1_sel:BYTE_1
	v_lshrrev_b16_e32 v18, 1, v18
	v_and_b32_e32 v18, 0x7f, v18
	v_add_u16_sdwa v17, v18, v17 dst_sel:DWORD dst_unused:UNUSED_PAD src0_sel:DWORD src1_sel:BYTE_1
	v_lshrrev_b16_e32 v27, 2, v17
	v_mul_lo_u16_e32 v17, 7, v27
	v_sub_u16_e32 v48, v34, v17
	v_mov_b32_e32 v17, 6
	v_mul_u32_u24_sdwa v17, v48, v17 dst_sel:DWORD dst_unused:UNUSED_PAD src0_sel:BYTE_0 src1_sel:DWORD
	v_lshlrev_b32_e32 v43, 4, v17
	s_waitcnt lgkmcnt(0)
	s_barrier
	global_load_dwordx4 v[17:20], v43, s[12:13]
	ds_read2_b64 v[21:24], v16 offset0:49 offset1:98
	s_movk_i32 s28, 0x188
	s_waitcnt vmcnt(0) lgkmcnt(0)
	v_mul_f64 v[25:26], v[21:22], v[19:20]
	v_mul_f64 v[19:20], v[0:1], v[19:20]
	v_fma_f64 v[25:26], v[0:1], v[17:18], -v[25:26]
	v_fma_f64 v[21:22], v[21:22], v[17:18], v[19:20]
	global_load_dwordx4 v[17:20], v43, s[12:13] offset:16
	s_waitcnt vmcnt(0)
	v_mul_f64 v[0:1], v[23:24], v[19:20]
	v_fma_f64 v[35:36], v[2:3], v[17:18], -v[0:1]
	v_mul_f64 v[0:1], v[2:3], v[19:20]
	v_fma_f64 v[23:24], v[23:24], v[17:18], v[0:1]
	global_load_dwordx4 v[0:3], v43, s[12:13] offset:64
	ds_read2_b64 v[17:20], v15 offset0:117 offset1:166
	s_waitcnt vmcnt(0) lgkmcnt(0)
	v_mul_f64 v[37:38], v[17:18], v[2:3]
	v_mul_f64 v[2:3], v[8:9], v[2:3]
	v_fma_f64 v[37:38], v[8:9], v[0:1], -v[37:38]
	v_fma_f64 v[17:18], v[17:18], v[0:1], v[2:3]
	global_load_dwordx4 v[0:3], v43, s[12:13] offset:80
	s_waitcnt vmcnt(0)
	v_mul_f64 v[8:9], v[19:20], v[2:3]
	v_mul_f64 v[2:3], v[10:11], v[2:3]
	v_fma_f64 v[39:40], v[10:11], v[0:1], -v[8:9]
	v_fma_f64 v[19:20], v[19:20], v[0:1], v[2:3]
	global_load_dwordx4 v[0:3], v43, s[12:13] offset:32
	ds_read2_b64 v[8:11], v16 offset0:147 offset1:196
	s_waitcnt vmcnt(0) lgkmcnt(0)
	v_mul_f64 v[41:42], v[8:9], v[2:3]
	v_mul_f64 v[2:3], v[4:5], v[2:3]
	v_fma_f64 v[41:42], v[4:5], v[0:1], -v[41:42]
	v_fma_f64 v[4:5], v[8:9], v[0:1], v[2:3]
	global_load_dwordx4 v[0:3], v43, s[12:13] offset:48
	s_waitcnt vmcnt(0)
	v_mul_f64 v[8:9], v[10:11], v[2:3]
	v_mul_f64 v[2:3], v[6:7], v[2:3]
	v_fma_f64 v[8:9], v[6:7], v[0:1], -v[8:9]
	v_fma_f64 v[0:1], v[10:11], v[0:1], v[2:3]
	v_add_f64 v[2:3], v[25:26], v[39:40]
	v_add_f64 v[10:11], v[21:22], v[19:20]
	v_add_f64 v[19:20], v[21:22], -v[19:20]
	v_add_f64 v[21:22], v[35:36], v[37:38]
	v_add_f64 v[6:7], v[25:26], -v[39:40]
	v_add_f64 v[25:26], v[35:36], -v[37:38]
	v_add_f64 v[35:36], v[23:24], v[17:18]
	v_add_f64 v[17:18], v[23:24], -v[17:18]
	v_add_f64 v[23:24], v[41:42], v[8:9]
	v_add_f64 v[37:38], v[4:5], v[0:1]
	v_add_f64 v[0:1], v[0:1], -v[4:5]
	v_add_f64 v[4:5], v[21:22], v[2:3]
	v_add_f64 v[8:9], v[8:9], -v[41:42]
	v_add_f64 v[39:40], v[21:22], -v[2:3]
	v_add_f64 v[41:42], v[35:36], -v[10:11]
	v_add_f64 v[2:3], v[2:3], -v[23:24]
	v_add_f64 v[21:22], v[23:24], -v[21:22]
	v_add_f64 v[45:46], v[0:1], -v[17:18]
	v_add_f64 v[4:5], v[23:24], v[4:5]
	v_add_f64 v[23:24], v[35:36], v[10:11]
	v_add_f64 v[10:11], v[10:11], -v[37:38]
	v_add_f64 v[35:36], v[37:38], -v[35:36]
	;; [unrolled: 1-line block ×3, first 2 shown]
	v_mul_f64 v[2:3], v[2:3], s[2:3]
	v_add_f64 v[12:13], v[12:13], v[4:5]
	v_add_f64 v[23:24], v[37:38], v[23:24]
	;; [unrolled: 1-line block ×3, first 2 shown]
	v_add_f64 v[8:9], v[6:7], -v[8:9]
	v_add_f64 v[25:26], v[25:26], -v[6:7]
	v_mul_f64 v[10:11], v[10:11], s[2:3]
	v_fma_f64 v[4:5], v[4:5], s[24:25], v[12:13]
	v_add_f64 v[6:7], v[37:38], v[6:7]
	v_add_f64 v[37:38], v[0:1], v[17:18]
	v_add_f64 v[0:1], v[19:20], -v[0:1]
	v_add_f64 v[17:18], v[17:18], -v[19:20]
	v_add_f64 v[19:20], v[37:38], v[19:20]
	v_mul_f64 v[37:38], v[21:22], s[4:5]
	v_fma_f64 v[21:22], v[21:22], s[4:5], v[2:3]
	v_fma_f64 v[2:3], v[39:40], s[8:9], -v[2:3]
	v_fma_f64 v[37:38], v[39:40], s[6:7], -v[37:38]
	v_mul_f64 v[39:40], v[35:36], s[4:5]
	v_fma_f64 v[35:36], v[35:36], s[4:5], v[10:11]
	v_fma_f64 v[10:11], v[41:42], s[8:9], -v[10:11]
	v_add_f64 v[21:22], v[21:22], v[4:5]
	v_add_f64 v[2:3], v[2:3], v[4:5]
	;; [unrolled: 1-line block ×3, first 2 shown]
	v_fma_f64 v[39:40], v[41:42], s[6:7], -v[39:40]
	v_mul_f64 v[41:42], v[43:44], s[20:21]
	v_mul_f64 v[43:44], v[25:26], s[16:17]
	ds_read_b64 v[4:5], v14
	s_waitcnt lgkmcnt(0)
	s_barrier
	v_fma_f64 v[25:26], v[25:26], s[16:17], -v[41:42]
	v_fma_f64 v[41:42], v[8:9], s[18:19], v[41:42]
	v_fma_f64 v[8:9], v[8:9], s[22:23], -v[43:44]
	v_mul_f64 v[43:44], v[45:46], s[20:21]
	v_mul_f64 v[45:46], v[17:18], s[16:17]
	v_fma_f64 v[25:26], v[6:7], s[14:15], v[25:26]
	v_fma_f64 v[17:18], v[17:18], s[16:17], -v[43:44]
	v_fma_f64 v[43:44], v[0:1], s[18:19], v[43:44]
	v_fma_f64 v[0:1], v[0:1], s[22:23], -v[45:46]
	v_add_f64 v[45:46], v[4:5], v[23:24]
	v_fma_f64 v[0:1], v[19:20], s[14:15], v[0:1]
	v_fma_f64 v[4:5], v[23:24], s[24:25], v[45:46]
	v_add_f64 v[23:24], v[35:36], v[4:5]
	v_add_f64 v[35:36], v[39:40], v[4:5]
	;; [unrolled: 1-line block ×3, first 2 shown]
	v_fma_f64 v[10:11], v[6:7], s[14:15], v[41:42]
	v_fma_f64 v[6:7], v[6:7], s[14:15], v[8:9]
	;; [unrolled: 1-line block ×4, first 2 shown]
	v_add_f64 v[39:40], v[4:5], -v[6:7]
	v_add_f64 v[19:20], v[37:38], -v[8:9]
	v_add_f64 v[8:9], v[8:9], v[37:38]
	v_add_f64 v[37:38], v[25:26], v[35:36]
	v_add_f64 v[25:26], v[35:36], -v[25:26]
	v_add_f64 v[35:36], v[0:1], v[2:3]
	v_add_f64 v[0:1], v[2:3], -v[0:1]
	v_add_f64 v[2:3], v[17:18], v[21:22]
	v_add_f64 v[41:42], v[6:7], v[4:5]
	v_add_f64 v[4:5], v[21:22], -v[17:18]
	v_mov_b32_e32 v6, 3
	v_lshlrev_b32_sdwa v6, v6, v48 dst_sel:DWORD dst_unused:UNUSED_PAD src0_sel:DWORD src1_sel:BYTE_0
	v_mad_u32_u24 v7, v27, s28, 0
	v_add_f64 v[17:18], v[23:24], -v[10:11]
	v_add_f64 v[21:22], v[10:11], v[23:24]
	v_add3_u32 v23, v7, v6, v47
	ds_write2_b64 v23, v[12:13], v[2:3] offset1:7
	ds_write2_b64 v23, v[35:36], v[19:20] offset0:14 offset1:21
	ds_write2_b64 v23, v[8:9], v[0:1] offset0:28 offset1:35
	ds_write_b64 v23, v[4:5] offset:336
	s_waitcnt lgkmcnt(0)
	s_barrier
	ds_read_b64 v[12:13], v14
	ds_read2_b64 v[4:7], v16 offset0:49 offset1:98
	ds_read2_b64 v[8:11], v16 offset0:147 offset1:196
	;; [unrolled: 1-line block ×3, first 2 shown]
	s_waitcnt lgkmcnt(0)
	s_barrier
	ds_write2_b64 v23, v[45:46], v[17:18] offset1:7
	ds_write2_b64 v23, v[39:40], v[37:38] offset0:14 offset1:21
	ds_write2_b64 v23, v[25:26], v[41:42] offset0:28 offset1:35
	ds_write_b64 v23, v[21:22] offset:336
	s_waitcnt lgkmcnt(0)
	s_barrier
	s_and_saveexec_b64 s[28:29], s[0:1]
	s_cbranch_execz .LBB0_14
; %bb.13:
	v_mul_u32_u24_e32 v17, 6, v34
	v_lshlrev_b32_e32 v25, 4, v17
	global_load_dwordx4 v[17:20], v25, s[12:13] offset:720
	global_load_dwordx4 v[21:24], v25, s[12:13] offset:704
	;; [unrolled: 1-line block ×6, first 2 shown]
	v_mul_lo_u32 v58, s27, v30
	v_mul_lo_u32 v31, s26, v31
	v_mad_u64_u32 v[25:26], s[0:1], s26, v30, 0
	ds_read2_b64 v[50:53], v16 offset0:147 offset1:196
	ds_read2_b64 v[54:57], v16 offset0:49 offset1:98
	v_mov_b32_e32 v16, s11
	v_add3_u32 v26, v26, v31, v58
	v_lshlrev_b64 v[25:26], 4, v[25:26]
	v_lshlrev_b64 v[27:28], 4, v[28:29]
	v_add_co_u32_e32 v31, vcc, s10, v25
	v_addc_co_u32_e32 v16, vcc, v16, v26, vcc
	v_add_co_u32_e32 v58, vcc, v31, v27
	v_addc_co_u32_e32 v59, vcc, v16, v28, vcc
	v_lshlrev_b64 v[31:32], 4, v[32:33]
	s_waitcnt vmcnt(5) lgkmcnt(1)
	v_mul_f64 v[25:26], v[52:53], v[19:20]
	s_waitcnt vmcnt(4)
	v_mul_f64 v[29:30], v[50:51], v[23:24]
	v_mul_f64 v[23:24], v[8:9], v[23:24]
	;; [unrolled: 1-line block ×3, first 2 shown]
	v_fma_f64 v[25:26], v[10:11], v[17:18], -v[25:26]
	v_fma_f64 v[27:28], v[8:9], v[21:22], -v[29:30]
	ds_read2_b64 v[8:11], v15 offset0:117 offset1:166
	v_fma_f64 v[15:16], v[21:22], v[50:51], v[23:24]
	s_waitcnt vmcnt(3) lgkmcnt(1)
	v_mul_f64 v[21:22], v[56:57], v[36:37]
	s_waitcnt vmcnt(2)
	v_mul_f64 v[23:24], v[54:55], v[40:41]
	v_fma_f64 v[17:18], v[17:18], v[52:53], v[19:20]
	s_waitcnt vmcnt(1) lgkmcnt(0)
	v_mul_f64 v[19:20], v[8:9], v[44:45]
	s_waitcnt vmcnt(0)
	v_mul_f64 v[29:30], v[10:11], v[48:49]
	v_mul_f64 v[36:37], v[6:7], v[36:37]
	;; [unrolled: 1-line block ×3, first 2 shown]
	v_fma_f64 v[6:7], v[6:7], v[34:35], -v[21:22]
	v_fma_f64 v[21:22], v[4:5], v[38:39], -v[23:24]
	v_mul_f64 v[4:5], v[4:5], v[40:41]
	v_mul_f64 v[23:24], v[2:3], v[48:49]
	v_fma_f64 v[0:1], v[0:1], v[42:43], -v[19:20]
	v_fma_f64 v[2:3], v[2:3], v[46:47], -v[29:30]
	v_fma_f64 v[19:20], v[34:35], v[56:57], v[36:37]
	v_fma_f64 v[8:9], v[42:43], v[8:9], v[44:45]
	v_add_co_u32_e32 v29, vcc, v58, v31
	v_fma_f64 v[4:5], v[38:39], v[54:55], v[4:5]
	v_fma_f64 v[10:11], v[46:47], v[10:11], v[23:24]
	v_addc_co_u32_e32 v30, vcc, v59, v32, vcc
	v_add_f64 v[23:24], v[25:26], -v[27:28]
	v_add_f64 v[31:32], v[6:7], -v[0:1]
	;; [unrolled: 1-line block ×3, first 2 shown]
	v_add_f64 v[37:38], v[19:20], v[8:9]
	v_add_f64 v[0:1], v[6:7], v[0:1]
	;; [unrolled: 1-line block ×4, first 2 shown]
	ds_read_b64 v[40:41], v14
	v_add_f64 v[35:36], v[17:18], v[15:16]
	v_add_f64 v[25:26], v[25:26], v[27:28]
	v_add_f64 v[6:7], v[17:18], -v[15:16]
	v_add_f64 v[8:9], v[19:20], -v[8:9]
	;; [unrolled: 1-line block ×3, first 2 shown]
	v_add_f64 v[10:11], v[23:24], v[31:32]
	v_add_f64 v[14:15], v[23:24], -v[31:32]
	v_add_f64 v[16:17], v[33:34], -v[23:24]
	v_add_f64 v[22:23], v[37:38], v[42:43]
	v_add_f64 v[46:47], v[0:1], v[2:3]
	v_add_f64 v[20:21], v[42:43], -v[35:36]
	v_add_f64 v[27:28], v[25:26], -v[0:1]
	;; [unrolled: 1-line block ×4, first 2 shown]
	v_add_f64 v[48:49], v[6:7], v[8:9]
	v_add_f64 v[31:32], v[31:32], -v[33:34]
	v_add_f64 v[22:23], v[35:36], v[22:23]
	v_add_f64 v[24:25], v[25:26], v[46:47]
	v_add_f64 v[8:9], v[8:9], -v[4:5]
	v_add_f64 v[18:19], v[35:36], -v[37:38]
	v_add_f64 v[6:7], v[4:5], -v[6:7]
	v_add_f64 v[37:38], v[37:38], -v[42:43]
	v_add_f64 v[42:43], v[0:1], -v[2:3]
	v_mul_f64 v[14:15], v[14:15], s[20:21]
	v_mul_f64 v[20:21], v[20:21], s[2:3]
	;; [unrolled: 1-line block ×4, first 2 shown]
	s_waitcnt lgkmcnt(0)
	v_add_f64 v[2:3], v[40:41], v[22:23]
	v_add_f64 v[0:1], v[12:13], v[24:25]
	;; [unrolled: 1-line block ×3, first 2 shown]
	v_mul_f64 v[48:49], v[31:32], s[16:17]
	v_mul_f64 v[50:51], v[8:9], s[16:17]
	v_add_f64 v[10:11], v[10:11], v[33:34]
	v_mul_f64 v[33:34], v[18:19], s[4:5]
	v_mul_f64 v[35:36], v[27:28], s[4:5]
	v_fma_f64 v[52:53], v[16:17], s[18:19], v[14:15]
	v_fma_f64 v[18:19], v[18:19], s[4:5], v[20:21]
	;; [unrolled: 1-line block ×6, first 2 shown]
	v_fma_f64 v[16:17], v[16:17], s[22:23], -v[48:49]
	v_fma_f64 v[20:21], v[37:38], s[8:9], -v[20:21]
	;; [unrolled: 1-line block ×8, first 2 shown]
	v_fma_f64 v[35:36], v[10:11], s[14:15], v[52:53]
	v_fma_f64 v[12:13], v[4:5], s[14:15], v[12:13]
	v_add_f64 v[43:44], v[18:19], v[22:23]
	v_add_f64 v[45:46], v[26:27], v[24:25]
	v_fma_f64 v[16:17], v[10:11], s[14:15], v[16:17]
	v_fma_f64 v[37:38], v[4:5], s[14:15], v[6:7]
	v_add_f64 v[20:21], v[20:21], v[22:23]
	v_add_f64 v[39:40], v[39:40], v[24:25]
	v_fma_f64 v[41:42], v[10:11], s[14:15], v[14:15]
	v_add_f64 v[18:19], v[33:34], v[22:23]
	v_fma_f64 v[47:48], v[4:5], s[14:15], v[8:9]
	v_add_f64 v[31:32], v[31:32], v[24:25]
	v_add_f64 v[26:27], v[43:44], -v[35:36]
	v_add_f64 v[24:25], v[12:13], v[45:46]
	v_add_f64 v[10:11], v[16:17], v[20:21]
	v_add_f64 v[22:23], v[20:21], -v[16:17]
	v_add_f64 v[20:21], v[37:38], v[39:40]
	v_add_f64 v[14:15], v[18:19], -v[41:42]
	;; [unrolled: 2-line block ×3, first 2 shown]
	v_add_f64 v[4:5], v[45:46], -v[12:13]
	v_add_f64 v[12:13], v[47:48], v[31:32]
	v_add_f64 v[8:9], v[39:40], -v[37:38]
	v_add_f64 v[6:7], v[35:36], v[43:44]
	v_add_co_u32_e32 v33, vcc, 0x1000, v29
	v_addc_co_u32_e32 v34, vcc, 0, v30, vcc
	global_store_dwordx4 v[29:30], v[0:3], off
	global_store_dwordx4 v[29:30], v[24:27], off offset:784
	global_store_dwordx4 v[29:30], v[20:23], off offset:1568
	;; [unrolled: 1-line block ×6, first 2 shown]
.LBB0_14:
	s_endpgm
	.section	.rodata,"a",@progbits
	.p2align	6, 0x0
	.amdhsa_kernel fft_rtc_fwd_len343_factors_7_7_7_wgs_245_tpt_49_halfLds_dp_op_CI_CI_unitstride_sbrr_dirReg
		.amdhsa_group_segment_fixed_size 0
		.amdhsa_private_segment_fixed_size 0
		.amdhsa_kernarg_size 104
		.amdhsa_user_sgpr_count 6
		.amdhsa_user_sgpr_private_segment_buffer 1
		.amdhsa_user_sgpr_dispatch_ptr 0
		.amdhsa_user_sgpr_queue_ptr 0
		.amdhsa_user_sgpr_kernarg_segment_ptr 1
		.amdhsa_user_sgpr_dispatch_id 0
		.amdhsa_user_sgpr_flat_scratch_init 0
		.amdhsa_user_sgpr_private_segment_size 0
		.amdhsa_uses_dynamic_stack 0
		.amdhsa_system_sgpr_private_segment_wavefront_offset 0
		.amdhsa_system_sgpr_workgroup_id_x 1
		.amdhsa_system_sgpr_workgroup_id_y 0
		.amdhsa_system_sgpr_workgroup_id_z 0
		.amdhsa_system_sgpr_workgroup_info 0
		.amdhsa_system_vgpr_workitem_id 0
		.amdhsa_next_free_vgpr 60
		.amdhsa_next_free_sgpr 30
		.amdhsa_reserve_vcc 1
		.amdhsa_reserve_flat_scratch 0
		.amdhsa_float_round_mode_32 0
		.amdhsa_float_round_mode_16_64 0
		.amdhsa_float_denorm_mode_32 3
		.amdhsa_float_denorm_mode_16_64 3
		.amdhsa_dx10_clamp 1
		.amdhsa_ieee_mode 1
		.amdhsa_fp16_overflow 0
		.amdhsa_exception_fp_ieee_invalid_op 0
		.amdhsa_exception_fp_denorm_src 0
		.amdhsa_exception_fp_ieee_div_zero 0
		.amdhsa_exception_fp_ieee_overflow 0
		.amdhsa_exception_fp_ieee_underflow 0
		.amdhsa_exception_fp_ieee_inexact 0
		.amdhsa_exception_int_div_zero 0
	.end_amdhsa_kernel
	.text
.Lfunc_end0:
	.size	fft_rtc_fwd_len343_factors_7_7_7_wgs_245_tpt_49_halfLds_dp_op_CI_CI_unitstride_sbrr_dirReg, .Lfunc_end0-fft_rtc_fwd_len343_factors_7_7_7_wgs_245_tpt_49_halfLds_dp_op_CI_CI_unitstride_sbrr_dirReg
                                        ; -- End function
	.section	.AMDGPU.csdata,"",@progbits
; Kernel info:
; codeLenInByte = 4680
; NumSgprs: 34
; NumVgprs: 60
; ScratchSize: 0
; MemoryBound: 1
; FloatMode: 240
; IeeeMode: 1
; LDSByteSize: 0 bytes/workgroup (compile time only)
; SGPRBlocks: 4
; VGPRBlocks: 14
; NumSGPRsForWavesPerEU: 34
; NumVGPRsForWavesPerEU: 60
; Occupancy: 4
; WaveLimiterHint : 1
; COMPUTE_PGM_RSRC2:SCRATCH_EN: 0
; COMPUTE_PGM_RSRC2:USER_SGPR: 6
; COMPUTE_PGM_RSRC2:TRAP_HANDLER: 0
; COMPUTE_PGM_RSRC2:TGID_X_EN: 1
; COMPUTE_PGM_RSRC2:TGID_Y_EN: 0
; COMPUTE_PGM_RSRC2:TGID_Z_EN: 0
; COMPUTE_PGM_RSRC2:TIDIG_COMP_CNT: 0
	.type	__hip_cuid_f75d3c6cc9bfd4ce,@object ; @__hip_cuid_f75d3c6cc9bfd4ce
	.section	.bss,"aw",@nobits
	.globl	__hip_cuid_f75d3c6cc9bfd4ce
__hip_cuid_f75d3c6cc9bfd4ce:
	.byte	0                               ; 0x0
	.size	__hip_cuid_f75d3c6cc9bfd4ce, 1

	.ident	"AMD clang version 19.0.0git (https://github.com/RadeonOpenCompute/llvm-project roc-6.4.0 25133 c7fe45cf4b819c5991fe208aaa96edf142730f1d)"
	.section	".note.GNU-stack","",@progbits
	.addrsig
	.addrsig_sym __hip_cuid_f75d3c6cc9bfd4ce
	.amdgpu_metadata
---
amdhsa.kernels:
  - .args:
      - .actual_access:  read_only
        .address_space:  global
        .offset:         0
        .size:           8
        .value_kind:     global_buffer
      - .offset:         8
        .size:           8
        .value_kind:     by_value
      - .actual_access:  read_only
        .address_space:  global
        .offset:         16
        .size:           8
        .value_kind:     global_buffer
      - .actual_access:  read_only
        .address_space:  global
        .offset:         24
        .size:           8
        .value_kind:     global_buffer
      - .actual_access:  read_only
        .address_space:  global
        .offset:         32
        .size:           8
        .value_kind:     global_buffer
      - .offset:         40
        .size:           8
        .value_kind:     by_value
      - .actual_access:  read_only
        .address_space:  global
        .offset:         48
        .size:           8
        .value_kind:     global_buffer
      - .actual_access:  read_only
        .address_space:  global
        .offset:         56
        .size:           8
        .value_kind:     global_buffer
      - .offset:         64
        .size:           4
        .value_kind:     by_value
      - .actual_access:  read_only
        .address_space:  global
        .offset:         72
        .size:           8
        .value_kind:     global_buffer
      - .actual_access:  read_only
        .address_space:  global
        .offset:         80
        .size:           8
        .value_kind:     global_buffer
      - .actual_access:  read_only
        .address_space:  global
        .offset:         88
        .size:           8
        .value_kind:     global_buffer
      - .actual_access:  write_only
        .address_space:  global
        .offset:         96
        .size:           8
        .value_kind:     global_buffer
    .group_segment_fixed_size: 0
    .kernarg_segment_align: 8
    .kernarg_segment_size: 104
    .language:       OpenCL C
    .language_version:
      - 2
      - 0
    .max_flat_workgroup_size: 245
    .name:           fft_rtc_fwd_len343_factors_7_7_7_wgs_245_tpt_49_halfLds_dp_op_CI_CI_unitstride_sbrr_dirReg
    .private_segment_fixed_size: 0
    .sgpr_count:     34
    .sgpr_spill_count: 0
    .symbol:         fft_rtc_fwd_len343_factors_7_7_7_wgs_245_tpt_49_halfLds_dp_op_CI_CI_unitstride_sbrr_dirReg.kd
    .uniform_work_group_size: 1
    .uses_dynamic_stack: false
    .vgpr_count:     60
    .vgpr_spill_count: 0
    .wavefront_size: 64
amdhsa.target:   amdgcn-amd-amdhsa--gfx906
amdhsa.version:
  - 1
  - 2
...

	.end_amdgpu_metadata
